;; amdgpu-corpus repo=ROCm/rocFFT kind=compiled arch=gfx1201 opt=O3
	.text
	.amdgcn_target "amdgcn-amd-amdhsa--gfx1201"
	.amdhsa_code_object_version 6
	.protected	fft_rtc_fwd_len91_factors_7_13_wgs_247_tpt_13_half_op_CI_CI_sbrr_dirReg ; -- Begin function fft_rtc_fwd_len91_factors_7_13_wgs_247_tpt_13_half_op_CI_CI_sbrr_dirReg
	.globl	fft_rtc_fwd_len91_factors_7_13_wgs_247_tpt_13_half_op_CI_CI_sbrr_dirReg
	.p2align	8
	.type	fft_rtc_fwd_len91_factors_7_13_wgs_247_tpt_13_half_op_CI_CI_sbrr_dirReg,@function
fft_rtc_fwd_len91_factors_7_13_wgs_247_tpt_13_half_op_CI_CI_sbrr_dirReg: ; @fft_rtc_fwd_len91_factors_7_13_wgs_247_tpt_13_half_op_CI_CI_sbrr_dirReg
; %bb.0:
	s_clause 0x1
	s_load_b128 s[12:15], s[0:1], 0x18
	s_load_b128 s[8:11], s[0:1], 0x0
	v_mul_u32_u24_e32 v1, 0x13b2, v0
	v_mov_b32_e32 v10, 0
	s_load_b128 s[4:7], s[0:1], 0x58
	s_wait_kmcnt 0x0
	s_load_b64 s[18:19], s[12:13], 0x0
	s_load_b64 s[16:17], s[14:15], 0x0
	v_lshrrev_b32_e32 v1, 16, v1
	v_cmp_lt_u64_e64 s2, s[10:11], 2
	s_delay_alu instid0(VALU_DEP_2) | instskip(SKIP_2) | instid1(VALU_DEP_2)
	v_mad_co_u64_u32 v[1:2], null, ttmp9, 19, v[1:2]
	v_mov_b32_e32 v8, 0
	v_dual_mov_b32 v9, 0 :: v_dual_mov_b32 v2, v10
	v_mov_b32_e32 v4, v8
	s_and_b32 vcc_lo, exec_lo, s2
	s_delay_alu instid0(VALU_DEP_2) | instskip(NEXT) | instid1(VALU_DEP_3)
	v_mov_b32_e32 v5, v9
	v_dual_mov_b32 v7, v2 :: v_dual_mov_b32 v6, v1
	s_cbranch_vccnz .LBB0_8
; %bb.1:
	s_load_b64 s[2:3], s[0:1], 0x10
	v_dual_mov_b32 v8, 0 :: v_dual_mov_b32 v3, v2
	v_dual_mov_b32 v9, 0 :: v_dual_mov_b32 v2, v1
	s_delay_alu instid0(VALU_DEP_2) | instskip(SKIP_2) | instid1(VALU_DEP_2)
	v_mov_b32_e32 v4, v8
	s_add_nc_u64 s[20:21], s[14:15], 8
	s_add_nc_u64 s[22:23], s[12:13], 8
	v_mov_b32_e32 v5, v9
	s_mov_b64 s[24:25], 1
	s_wait_kmcnt 0x0
	s_add_nc_u64 s[26:27], s[2:3], 8
	s_mov_b32 s3, 0
.LBB0_2:                                ; =>This Inner Loop Header: Depth=1
	s_load_b64 s[28:29], s[26:27], 0x0
                                        ; implicit-def: $vgpr6_vgpr7
	s_mov_b32 s2, exec_lo
	s_wait_kmcnt 0x0
	v_or_b32_e32 v11, s29, v3
	s_delay_alu instid0(VALU_DEP_1)
	v_cmpx_ne_u64_e32 0, v[10:11]
	s_wait_alu 0xfffe
	s_xor_b32 s30, exec_lo, s2
	s_cbranch_execz .LBB0_4
; %bb.3:                                ;   in Loop: Header=BB0_2 Depth=1
	s_cvt_f32_u32 s2, s28
	s_cvt_f32_u32 s31, s29
	s_sub_nc_u64 s[36:37], 0, s[28:29]
	s_wait_alu 0xfffe
	s_delay_alu instid0(SALU_CYCLE_1) | instskip(SKIP_1) | instid1(SALU_CYCLE_2)
	s_fmamk_f32 s2, s31, 0x4f800000, s2
	s_wait_alu 0xfffe
	v_s_rcp_f32 s2, s2
	s_delay_alu instid0(TRANS32_DEP_1) | instskip(SKIP_1) | instid1(SALU_CYCLE_2)
	s_mul_f32 s2, s2, 0x5f7ffffc
	s_wait_alu 0xfffe
	s_mul_f32 s31, s2, 0x2f800000
	s_wait_alu 0xfffe
	s_delay_alu instid0(SALU_CYCLE_2) | instskip(SKIP_1) | instid1(SALU_CYCLE_2)
	s_trunc_f32 s31, s31
	s_wait_alu 0xfffe
	s_fmamk_f32 s2, s31, 0xcf800000, s2
	s_cvt_u32_f32 s35, s31
	s_wait_alu 0xfffe
	s_delay_alu instid0(SALU_CYCLE_1) | instskip(SKIP_1) | instid1(SALU_CYCLE_2)
	s_cvt_u32_f32 s34, s2
	s_wait_alu 0xfffe
	s_mul_u64 s[38:39], s[36:37], s[34:35]
	s_wait_alu 0xfffe
	s_mul_hi_u32 s41, s34, s39
	s_mul_i32 s40, s34, s39
	s_mul_hi_u32 s2, s34, s38
	s_mul_i32 s33, s35, s38
	s_wait_alu 0xfffe
	s_add_nc_u64 s[40:41], s[2:3], s[40:41]
	s_mul_hi_u32 s31, s35, s38
	s_mul_hi_u32 s42, s35, s39
	s_add_co_u32 s2, s40, s33
	s_wait_alu 0xfffe
	s_add_co_ci_u32 s2, s41, s31
	s_mul_i32 s38, s35, s39
	s_add_co_ci_u32 s39, s42, 0
	s_wait_alu 0xfffe
	s_add_nc_u64 s[38:39], s[2:3], s[38:39]
	s_wait_alu 0xfffe
	v_add_co_u32 v6, s2, s34, s38
	s_delay_alu instid0(VALU_DEP_1) | instskip(SKIP_1) | instid1(VALU_DEP_1)
	s_cmp_lg_u32 s2, 0
	s_add_co_ci_u32 s35, s35, s39
	v_readfirstlane_b32 s34, v6
	s_wait_alu 0xfffe
	s_delay_alu instid0(VALU_DEP_1)
	s_mul_u64 s[36:37], s[36:37], s[34:35]
	s_wait_alu 0xfffe
	s_mul_hi_u32 s39, s34, s37
	s_mul_i32 s38, s34, s37
	s_mul_hi_u32 s2, s34, s36
	s_mul_i32 s33, s35, s36
	s_wait_alu 0xfffe
	s_add_nc_u64 s[38:39], s[2:3], s[38:39]
	s_mul_hi_u32 s31, s35, s36
	s_mul_hi_u32 s34, s35, s37
	s_wait_alu 0xfffe
	s_add_co_u32 s2, s38, s33
	s_add_co_ci_u32 s2, s39, s31
	s_mul_i32 s36, s35, s37
	s_add_co_ci_u32 s37, s34, 0
	s_wait_alu 0xfffe
	s_add_nc_u64 s[36:37], s[2:3], s[36:37]
	s_wait_alu 0xfffe
	v_add_co_u32 v11, s2, v6, s36
	s_delay_alu instid0(VALU_DEP_1) | instskip(SKIP_1) | instid1(VALU_DEP_1)
	s_cmp_lg_u32 s2, 0
	s_add_co_ci_u32 s2, s35, s37
	v_mul_hi_u32 v15, v2, v11
	s_wait_alu 0xfffe
	v_mad_co_u64_u32 v[6:7], null, v2, s2, 0
	v_mad_co_u64_u32 v[11:12], null, v3, v11, 0
	;; [unrolled: 1-line block ×3, first 2 shown]
	s_delay_alu instid0(VALU_DEP_3) | instskip(SKIP_1) | instid1(VALU_DEP_4)
	v_add_co_u32 v6, vcc_lo, v15, v6
	s_wait_alu 0xfffd
	v_add_co_ci_u32_e32 v7, vcc_lo, 0, v7, vcc_lo
	s_delay_alu instid0(VALU_DEP_2) | instskip(SKIP_1) | instid1(VALU_DEP_2)
	v_add_co_u32 v6, vcc_lo, v6, v11
	s_wait_alu 0xfffd
	v_add_co_ci_u32_e32 v6, vcc_lo, v7, v12, vcc_lo
	s_wait_alu 0xfffd
	v_add_co_ci_u32_e32 v7, vcc_lo, 0, v14, vcc_lo
	s_delay_alu instid0(VALU_DEP_2) | instskip(SKIP_1) | instid1(VALU_DEP_2)
	v_add_co_u32 v11, vcc_lo, v6, v13
	s_wait_alu 0xfffd
	v_add_co_ci_u32_e32 v12, vcc_lo, 0, v7, vcc_lo
	s_delay_alu instid0(VALU_DEP_2) | instskip(SKIP_1) | instid1(VALU_DEP_3)
	v_mul_lo_u32 v13, s29, v11
	v_mad_co_u64_u32 v[6:7], null, s28, v11, 0
	v_mul_lo_u32 v14, s28, v12
	s_delay_alu instid0(VALU_DEP_2) | instskip(NEXT) | instid1(VALU_DEP_2)
	v_sub_co_u32 v6, vcc_lo, v2, v6
	v_add3_u32 v7, v7, v14, v13
	s_delay_alu instid0(VALU_DEP_1) | instskip(SKIP_1) | instid1(VALU_DEP_1)
	v_sub_nc_u32_e32 v13, v3, v7
	s_wait_alu 0xfffd
	v_subrev_co_ci_u32_e64 v13, s2, s29, v13, vcc_lo
	v_add_co_u32 v14, s2, v11, 2
	s_wait_alu 0xf1ff
	v_add_co_ci_u32_e64 v15, s2, 0, v12, s2
	v_sub_co_u32 v16, s2, v6, s28
	v_sub_co_ci_u32_e32 v7, vcc_lo, v3, v7, vcc_lo
	s_wait_alu 0xf1ff
	v_subrev_co_ci_u32_e64 v13, s2, 0, v13, s2
	s_delay_alu instid0(VALU_DEP_3) | instskip(NEXT) | instid1(VALU_DEP_3)
	v_cmp_le_u32_e32 vcc_lo, s28, v16
	v_cmp_eq_u32_e64 s2, s29, v7
	s_wait_alu 0xfffd
	v_cndmask_b32_e64 v16, 0, -1, vcc_lo
	v_cmp_le_u32_e32 vcc_lo, s29, v13
	s_wait_alu 0xfffd
	v_cndmask_b32_e64 v17, 0, -1, vcc_lo
	v_cmp_le_u32_e32 vcc_lo, s28, v6
	;; [unrolled: 3-line block ×3, first 2 shown]
	s_wait_alu 0xfffd
	v_cndmask_b32_e64 v18, 0, -1, vcc_lo
	v_cmp_eq_u32_e32 vcc_lo, s29, v13
	s_wait_alu 0xf1ff
	s_delay_alu instid0(VALU_DEP_2)
	v_cndmask_b32_e64 v6, v18, v6, s2
	s_wait_alu 0xfffd
	v_cndmask_b32_e32 v13, v17, v16, vcc_lo
	v_add_co_u32 v16, vcc_lo, v11, 1
	s_wait_alu 0xfffd
	v_add_co_ci_u32_e32 v17, vcc_lo, 0, v12, vcc_lo
	s_delay_alu instid0(VALU_DEP_3) | instskip(SKIP_2) | instid1(VALU_DEP_3)
	v_cmp_ne_u32_e32 vcc_lo, 0, v13
	s_wait_alu 0xfffd
	v_cndmask_b32_e32 v13, v16, v14, vcc_lo
	v_cndmask_b32_e32 v7, v17, v15, vcc_lo
	v_cmp_ne_u32_e32 vcc_lo, 0, v6
	s_wait_alu 0xfffd
	s_delay_alu instid0(VALU_DEP_2)
	v_dual_cndmask_b32 v6, v11, v13 :: v_dual_cndmask_b32 v7, v12, v7
.LBB0_4:                                ;   in Loop: Header=BB0_2 Depth=1
	s_wait_alu 0xfffe
	s_and_not1_saveexec_b32 s2, s30
	s_cbranch_execz .LBB0_6
; %bb.5:                                ;   in Loop: Header=BB0_2 Depth=1
	v_cvt_f32_u32_e32 v6, s28
	s_sub_co_i32 s30, 0, s28
	s_delay_alu instid0(VALU_DEP_1) | instskip(NEXT) | instid1(TRANS32_DEP_1)
	v_rcp_iflag_f32_e32 v6, v6
	v_mul_f32_e32 v6, 0x4f7ffffe, v6
	s_delay_alu instid0(VALU_DEP_1) | instskip(SKIP_1) | instid1(VALU_DEP_1)
	v_cvt_u32_f32_e32 v6, v6
	s_wait_alu 0xfffe
	v_mul_lo_u32 v7, s30, v6
	s_delay_alu instid0(VALU_DEP_1) | instskip(NEXT) | instid1(VALU_DEP_1)
	v_mul_hi_u32 v7, v6, v7
	v_add_nc_u32_e32 v6, v6, v7
	s_delay_alu instid0(VALU_DEP_1) | instskip(NEXT) | instid1(VALU_DEP_1)
	v_mul_hi_u32 v6, v2, v6
	v_mul_lo_u32 v7, v6, s28
	v_add_nc_u32_e32 v11, 1, v6
	s_delay_alu instid0(VALU_DEP_2) | instskip(NEXT) | instid1(VALU_DEP_1)
	v_sub_nc_u32_e32 v7, v2, v7
	v_subrev_nc_u32_e32 v12, s28, v7
	v_cmp_le_u32_e32 vcc_lo, s28, v7
	s_wait_alu 0xfffd
	s_delay_alu instid0(VALU_DEP_2) | instskip(NEXT) | instid1(VALU_DEP_1)
	v_dual_cndmask_b32 v7, v7, v12 :: v_dual_cndmask_b32 v6, v6, v11
	v_cmp_le_u32_e32 vcc_lo, s28, v7
	s_delay_alu instid0(VALU_DEP_2) | instskip(SKIP_2) | instid1(VALU_DEP_2)
	v_add_nc_u32_e32 v11, 1, v6
	v_mov_b32_e32 v7, v10
	s_wait_alu 0xfffd
	v_cndmask_b32_e32 v6, v6, v11, vcc_lo
.LBB0_6:                                ;   in Loop: Header=BB0_2 Depth=1
	s_wait_alu 0xfffe
	s_or_b32 exec_lo, exec_lo, s2
	v_mul_lo_u32 v13, v7, s28
	s_delay_alu instid0(VALU_DEP_2)
	v_mul_lo_u32 v14, v6, s29
	s_load_b64 s[30:31], s[22:23], 0x0
	v_mad_co_u64_u32 v[11:12], null, v6, s28, 0
	s_load_b64 s[28:29], s[20:21], 0x0
	s_add_nc_u64 s[24:25], s[24:25], 1
	s_add_nc_u64 s[20:21], s[20:21], 8
	s_wait_alu 0xfffe
	v_cmp_ge_u64_e64 s2, s[24:25], s[10:11]
	s_add_nc_u64 s[22:23], s[22:23], 8
	s_add_nc_u64 s[26:27], s[26:27], 8
	v_add3_u32 v12, v12, v14, v13
	v_sub_co_u32 v2, vcc_lo, v2, v11
	s_wait_alu 0xfffd
	s_delay_alu instid0(VALU_DEP_2) | instskip(SKIP_2) | instid1(VALU_DEP_1)
	v_sub_co_ci_u32_e32 v3, vcc_lo, v3, v12, vcc_lo
	s_and_b32 vcc_lo, exec_lo, s2
	s_wait_kmcnt 0x0
	v_mul_lo_u32 v11, s30, v3
	v_mul_lo_u32 v12, s31, v2
	v_mad_co_u64_u32 v[8:9], null, s30, v2, v[8:9]
	v_mul_lo_u32 v3, s28, v3
	v_mul_lo_u32 v13, s29, v2
	v_mad_co_u64_u32 v[4:5], null, s28, v2, v[4:5]
	s_delay_alu instid0(VALU_DEP_4) | instskip(NEXT) | instid1(VALU_DEP_2)
	v_add3_u32 v9, v12, v9, v11
	v_add3_u32 v5, v13, v5, v3
	s_wait_alu 0xfffe
	s_cbranch_vccnz .LBB0_8
; %bb.7:                                ;   in Loop: Header=BB0_2 Depth=1
	v_dual_mov_b32 v2, v6 :: v_dual_mov_b32 v3, v7
	s_branch .LBB0_2
.LBB0_8:
	s_load_b64 s[0:1], s[0:1], 0x28
	v_mul_hi_u32 v14, 0x13b13b14, v0
	s_lshl_b64 s[10:11], s[10:11], 3
                                        ; implicit-def: $sgpr2
                                        ; implicit-def: $vgpr20
	s_wait_kmcnt 0x0
	v_cmp_gt_u64_e32 vcc_lo, s[0:1], v[6:7]
	v_cmp_le_u64_e64 s0, s[0:1], v[6:7]
	s_delay_alu instid0(VALU_DEP_1)
	s_and_saveexec_b32 s1, s0
	s_wait_alu 0xfffe
	s_xor_b32 s0, exec_lo, s1
; %bb.9:
	v_mul_u32_u24_e32 v2, 13, v14
	s_mov_b32 s2, 0
                                        ; implicit-def: $vgpr14
                                        ; implicit-def: $vgpr8_vgpr9
	s_delay_alu instid0(VALU_DEP_1)
	v_sub_nc_u32_e32 v20, v0, v2
                                        ; implicit-def: $vgpr0
; %bb.10:
	s_wait_alu 0xfffe
	s_or_saveexec_b32 s1, s0
	v_dual_mov_b32 v3, s2 :: v_dual_mov_b32 v12, s2
	v_mov_b32_e32 v11, s2
	s_add_nc_u64 s[2:3], s[14:15], s[10:11]
                                        ; implicit-def: $vgpr13
                                        ; implicit-def: $vgpr10
                                        ; implicit-def: $vgpr2
                                        ; implicit-def: $vgpr15
                                        ; implicit-def: $vgpr16
	s_wait_alu 0xfffe
	s_xor_b32 exec_lo, exec_lo, s1
	s_cbranch_execz .LBB0_12
; %bb.11:
	s_add_nc_u64 s[10:11], s[12:13], s[10:11]
	v_mul_u32_u24_e32 v2, 13, v14
	s_load_b64 s[10:11], s[10:11], 0x0
	s_delay_alu instid0(VALU_DEP_1) | instskip(SKIP_1) | instid1(VALU_DEP_2)
	v_sub_nc_u32_e32 v20, v0, v2
	v_lshlrev_b64_e32 v[2:3], 2, v[8:9]
	v_mad_co_u64_u32 v[8:9], null, s18, v20, 0
	v_add_nc_u32_e32 v23, 13, v20
	v_add_nc_u32_e32 v24, 26, v20
	s_delay_alu instid0(VALU_DEP_1) | instskip(NEXT) | instid1(VALU_DEP_4)
	v_mad_co_u64_u32 v[12:13], null, s18, v24, 0
	v_mov_b32_e32 v0, v9
	s_wait_kmcnt 0x0
	v_mul_lo_u32 v9, s11, v6
	v_mul_lo_u32 v27, s10, v7
	v_mad_co_u64_u32 v[14:15], null, s10, v6, 0
	v_mad_co_u64_u32 v[10:11], null, s18, v23, 0
	v_add_nc_u32_e32 v25, 39, v20
	v_mad_co_u64_u32 v[18:19], null, s19, v20, v[0:1]
	v_add_nc_u32_e32 v28, 52, v20
	v_add3_u32 v15, v15, v27, v9
	v_mov_b32_e32 v0, v11
	v_mad_co_u64_u32 v[16:17], null, s18, v25, 0
	v_mov_b32_e32 v9, v18
	s_delay_alu instid0(VALU_DEP_4) | instskip(SKIP_1) | instid1(VALU_DEP_3)
	v_lshlrev_b64_e32 v[14:15], 2, v[14:15]
	v_dual_mov_b32 v11, v13 :: v_dual_add_nc_u32 v26, 0x41, v20
	v_lshlrev_b64_e32 v[8:9], 2, v[8:9]
	v_mov_b32_e32 v13, v17
	v_mad_co_u64_u32 v[17:18], null, s19, v23, v[0:1]
	v_add_co_u32 v0, s0, s4, v14
	v_mad_co_u64_u32 v[21:22], null, s18, v26, 0
	s_wait_alu 0xf1ff
	v_add_co_ci_u32_e64 v14, s0, s5, v15, s0
	s_delay_alu instid0(VALU_DEP_3) | instskip(SKIP_2) | instid1(VALU_DEP_3)
	v_add_co_u32 v27, s0, v0, v2
	v_mad_co_u64_u32 v[18:19], null, s19, v24, v[11:12]
	s_wait_alu 0xf1ff
	v_add_co_ci_u32_e64 v29, s0, v14, v3, s0
	v_mad_co_u64_u32 v[2:3], null, s19, v25, v[13:14]
	v_mad_co_u64_u32 v[14:15], null, s18, v28, 0
	v_dual_mov_b32 v11, v17 :: v_dual_mov_b32 v0, v22
	v_add_nc_u32_e32 v3, 0x4e, v20
	v_add_co_u32 v8, s0, v27, v8
	s_delay_alu instid0(VALU_DEP_3) | instskip(NEXT) | instid1(VALU_DEP_4)
	v_lshlrev_b64_e32 v[10:11], 2, v[10:11]
	v_mad_co_u64_u32 v[25:26], null, s19, v26, v[0:1]
	v_mov_b32_e32 v0, v15
	v_mad_co_u64_u32 v[23:24], null, s18, v3, 0
	v_mov_b32_e32 v13, v18
	v_mov_b32_e32 v17, v2
	s_delay_alu instid0(VALU_DEP_4)
	v_mad_co_u64_u32 v[18:19], null, s19, v28, v[0:1]
	v_mov_b32_e32 v22, v25
	s_wait_alu 0xf1ff
	v_add_co_ci_u32_e64 v9, s0, v29, v9, s0
	v_mov_b32_e32 v2, v24
	v_add_co_u32 v25, s0, v27, v10
	s_wait_alu 0xf1ff
	v_add_co_ci_u32_e64 v26, s0, v29, v11, s0
	s_delay_alu instid0(VALU_DEP_3)
	v_mad_co_u64_u32 v[2:3], null, s19, v3, v[2:3]
	v_lshlrev_b64_e32 v[10:11], 2, v[16:17]
	v_mov_b32_e32 v15, v18
	v_lshlrev_b64_e32 v[16:17], 2, v[21:22]
	v_lshlrev_b64_e32 v[12:13], 2, v[12:13]
	v_mov_b32_e32 v24, v2
	v_add_co_u32 v2, s0, v27, v10
	s_wait_alu 0xf1ff
	v_add_co_ci_u32_e64 v3, s0, v29, v11, s0
	s_delay_alu instid0(VALU_DEP_3) | instskip(SKIP_4) | instid1(VALU_DEP_4)
	v_lshlrev_b64_e32 v[10:11], 2, v[23:24]
	v_add_co_u32 v16, s0, v27, v16
	s_wait_alu 0xf1ff
	v_add_co_ci_u32_e64 v17, s0, v29, v17, s0
	v_lshlrev_b64_e32 v[14:15], 2, v[14:15]
	v_add_co_u32 v10, s0, v27, v10
	s_wait_alu 0xf1ff
	v_add_co_ci_u32_e64 v11, s0, v29, v11, s0
	v_add_co_u32 v12, s0, v27, v12
	s_wait_alu 0xf1ff
	v_add_co_ci_u32_e64 v13, s0, v29, v13, s0
	v_add_co_u32 v14, s0, v27, v14
	s_clause 0x2
	global_load_b32 v0, v[2:3], off
	global_load_b32 v16, v[16:17], off
	;; [unrolled: 1-line block ×3, first 2 shown]
	s_wait_alu 0xf1ff
	v_add_co_ci_u32_e64 v15, s0, v29, v15, s0
	s_clause 0x3
	global_load_b32 v2, v[8:9], off
	global_load_b32 v3, v[25:26], off
	;; [unrolled: 1-line block ×4, first 2 shown]
	s_wait_loadcnt 0x5
	v_lshrrev_b32_e32 v13, 16, v16
	s_wait_loadcnt 0x4
	v_bfi_b32 v15, 0xffff, v0, v10
	v_bfi_b32 v16, 0xffff, v16, v0
.LBB0_12:
	s_or_b32 exec_lo, exec_lo, s1
	v_mul_hi_u32 v0, 0xaf286bcb, v1
	s_wait_loadcnt 0x2
	v_add_f16_e32 v8, v10, v3
	s_wait_loadcnt 0x1
	v_lshrrev_b32_e32 v9, 16, v12
	s_wait_loadcnt 0x0
	v_bfi_b32 v17, 0xffff, v11, v3
	v_bfi_b32 v18, 0xffff, v12, v11
	v_alignbit_b32 v12, v11, v12, 16
	v_alignbit_b32 v3, v3, v11, 16
	;; [unrolled: 1-line block ×3, first 2 shown]
	v_sub_nc_u32_e32 v19, v1, v0
	v_perm_b32 v21, v15, v13, 0x5040100
	v_add_f16_e32 v9, v13, v9
	v_pk_add_f16 v13, v17, v15 neg_lo:[0,1] neg_hi:[0,1]
	v_pk_add_f16 v15, v15, v17
	v_lshrrev_b32_e32 v11, 1, v19
	v_pk_add_f16 v19, v18, v16 neg_lo:[0,1] neg_hi:[0,1]
	v_pk_add_f16 v16, v16, v18
	v_pk_add_f16 v3, v3, v10 neg_lo:[0,1] neg_hi:[0,1]
	v_bfi_b32 v10, 0xffff, v8, v15
	v_add_nc_u32_e32 v0, v11, v0
	v_pk_add_f16 v11, v12, v21 neg_lo:[0,1] neg_hi:[0,1]
	v_pack_b32_f16 v12, v16, v9
	v_pack_b32_f16 v23, v3, v19
	v_sub_f16_e32 v17, v16, v8
	v_lshrrev_b32_e32 v0, 4, v0
	v_lshrrev_b32_e32 v18, 16, v15
	v_pk_add_f16 v22, v15, v16 neg_lo:[0,1] neg_hi:[0,1]
	v_bfi_b32 v8, 0xffff, v8, v16
	v_pack_b32_f16 v21, v15, v9
	v_mul_lo_u32 v0, v0, 19
	v_pk_add_f16 v24, v3, v11 neg_lo:[0,1] neg_hi:[0,1]
	v_lshrrev_b32_e32 v26, 16, v3
	v_bfi_b32 v15, 0xffff, v15, v16
	v_perm_b32 v25, v11, v13, 0x7060302
	v_lshrrev_b32_e32 v27, 16, v13
	v_pk_add_f16 v8, v8, v21 neg_lo:[0,1] neg_hi:[0,1]
	v_sub_f16_e32 v9, v9, v18
	v_sub_nc_u32_e32 v0, v1, v0
	v_perm_b32 v1, v3, v13, 0x7060302
	v_pk_add_f16 v3, v10, v12
	v_pk_add_f16 v12, v25, v23 neg_lo:[0,1] neg_hi:[0,1]
	v_sub_f16_e32 v10, v19, v26
	v_mul_u32_u24_e32 v16, 0x5b, v0
	v_pk_add_f16 v0, v23, v11
	v_pk_add_f16 v3, v3, v15
	v_sub_f16_e32 v11, v11, v27
	v_pk_mul_f16 v13, 0xb8463574, v12
	v_mul_f16_e32 v9, 0x39e0, v9
	v_pk_add_f16 v0, v1, v0
	v_pk_mul_f16 v1, 0x3a522b26, v22
	v_pk_add_f16 v21, v3, v2
	v_pk_mul_f16 v2, 0x2b263a52, v8
	v_mul_f16_e32 v8, 0x39e0, v17
	v_mul_f16_e32 v10, 0x3b00, v10
	v_lshrrev_b32_e32 v17, 16, v1
	v_mul_f16_e32 v11, 0x3b00, v11
	v_pk_fma_f16 v3, 0xbcab, v3, v21 op_sel_hi:[0,1,1]
	v_pk_fma_f16 v18, 0x3a522b26, v22, v2
	v_pk_fma_f16 v13, 0x3574b846, v24, v13
	v_xor_b32_e32 v17, 0x8000, v17
	v_pack_b32_f16 v1, v1, v9
	v_pack_b32_f16 v19, v11, -v10
	v_pack_b32_f16 v9, -v2, v9
	v_pack_b32_f16 v11, -v11, v10
	v_perm_b32 v17, v17, v8, 0x5040100
	v_bfi_b32 v2, 0xffff, v8, v2
	v_pk_add_f16 v18, v18, v3
	v_pk_fma_f16 v13, 0x370e, v0, v13 op_sel_hi:[0,1,1]
	v_pk_fma_f16 v8, 0x3574b846, v24, v19 neg_lo:[0,1,0] neg_hi:[0,1,0]
	v_pk_add_f16 v1, v17, v1 neg_lo:[0,1] neg_hi:[0,1]
	v_pk_fma_f16 v11, 0xb8463574, v12, v11 neg_lo:[0,1,0] neg_hi:[0,1,0]
	v_pk_add_f16 v2, v9, v2 neg_lo:[0,1] neg_hi:[0,1]
	s_load_b64 s[2:3], s[2:3], 0x0
	v_pk_add_f16 v10, v18, v13
	v_pk_add_f16 v9, v18, v13 neg_lo:[0,1] neg_hi:[0,1]
	v_pk_add_f16 v1, v1, v3
	v_pk_fma_f16 v13, 0x370e, v0, v8 op_sel_hi:[0,1,1]
	v_pk_fma_f16 v11, 0x370e, v0, v11 op_sel_hi:[0,1,1]
	v_pk_add_f16 v2, v2, v3
	v_mad_u32_u24 v14, v20, 28, 0
	v_bfi_b32 v17, 0xffff, v10, v9
	v_pk_add_f16 v12, v1, v13 neg_lo:[0,1] neg_hi:[0,1]
	v_alignbit_b32 v3, v1, v11, 16
	v_alignbit_b32 v18, v13, v2, 16
	v_pk_add_f16 v8, v2, v11 neg_lo:[0,1] neg_hi:[0,1]
	v_pk_add_f16 v13, v13, v1
	v_lshl_add_u32 v15, v16, 2, v14
	v_lshrrev_b32_e32 v33, 16, v10
	v_pk_add_f16 v1, v3, v18
	v_alignbit_b32 v0, v12, v12, 16
	v_add_f16_e32 v11, v2, v11
	v_alignbit_b32 v2, v8, v8, 16
	v_alignbit_b32 v3, v9, v13, 16
	v_lshrrev_b32_e32 v34, 16, v13
	v_lshrrev_b32_e32 v13, 16, v1
	v_cmp_gt_u32_e64 s0, 7, v20
	v_lshrrev_b32_e32 v42, 16, v9
	v_lshrrev_b32_e32 v41, 16, v12
	;; [unrolled: 1-line block ×3, first 2 shown]
	ds_store_2addr_b32 v15, v21, v17 offset1:1
	ds_store_b16 v15, v11 offset:8
	ds_store_b128 v15, v[0:3] offset:10
	ds_store_b16 v15, v33 offset:26
	global_wb scope:SCOPE_SE
	s_wait_dscnt 0x0
	s_wait_kmcnt 0x0
	s_barrier_signal -1
	s_barrier_wait -1
	global_inv scope:SCOPE_SE
                                        ; implicit-def: $vgpr43
                                        ; implicit-def: $vgpr19
                                        ; implicit-def: $vgpr40
                                        ; implicit-def: $vgpr38
                                        ; implicit-def: $vgpr17
                                        ; implicit-def: $vgpr37
                                        ; implicit-def: $vgpr36
                                        ; implicit-def: $vgpr15
                                        ; implicit-def: $vgpr35
	s_and_saveexec_b32 s1, s0
	s_cbranch_execz .LBB0_14
; %bb.13:
	v_lshlrev_b32_e32 v0, 2, v16
	v_mul_i32_i24_e32 v1, 0xffffffe8, v20
	v_lshlrev_b32_e32 v2, 2, v20
	s_delay_alu instid0(VALU_DEP_2) | instskip(NEXT) | instid1(VALU_DEP_2)
	v_add3_u32 v1, v14, v1, v0
	v_add3_u32 v0, 0, v0, v2
	ds_load_2addr_b32 v[14:15], v1 offset0:49 offset1:56
	ds_load_2addr_b32 v[16:17], v1 offset0:63 offset1:70
	ds_load_2addr_b32 v[18:19], v1 offset0:77 offset1:84
	ds_load_2addr_b32 v[10:11], v1 offset0:7 offset1:14
	ds_load_2addr_b32 v[12:13], v1 offset0:21 offset1:28
	ds_load_2addr_b32 v[8:9], v1 offset0:35 offset1:42
	ds_load_b32 v21, v0
	ds_load_u16 v35, v1 offset:198
	s_wait_dscnt 0x5
	v_lshrrev_b32_e32 v40, 16, v18
	v_lshrrev_b32_e32 v36, 16, v15
	v_lshrrev_b32_e32 v37, 16, v16
	v_lshrrev_b32_e32 v38, 16, v17
	v_lshrrev_b32_e32 v43, 16, v19
	s_wait_dscnt 0x4
	v_lshrrev_b32_e32 v42, 16, v10
	v_lshrrev_b32_e32 v41, 16, v11
	s_wait_dscnt 0x3
	v_lshrrev_b32_e32 v1, 16, v12
	v_lshrrev_b32_e32 v39, 16, v13
	;; [unrolled: 3-line block ×3, first 2 shown]
.LBB0_14:
	s_wait_alu 0xfffe
	s_or_b32 exec_lo, exec_lo, s1
	v_cmp_gt_u32_e64 s1, 7, v20
	s_delay_alu instid0(VALU_DEP_1)
	s_and_b32 s1, vcc_lo, s1
	s_wait_alu 0xfffe
	s_and_saveexec_b32 s4, s1
	s_cbranch_execz .LBB0_16
; %bb.15:
	v_dual_mov_b32 v3, 0 :: v_dual_add_nc_u32 v0, -7, v20
	v_mul_lo_u32 v7, s2, v7
	s_wait_dscnt 0x1
	v_lshrrev_b32_e32 v22, 16, v21
	s_delay_alu instid0(VALU_DEP_3) | instskip(NEXT) | instid1(VALU_DEP_1)
	v_cndmask_b32_e64 v0, v0, v20, s0
	v_mul_i32_i24_e32 v2, 12, v0
	v_mul_lo_u32 v0, s3, v6
	s_delay_alu instid0(VALU_DEP_2) | instskip(NEXT) | instid1(VALU_DEP_1)
	v_lshlrev_b64_e32 v[2:3], 2, v[2:3]
	v_add_co_u32 v2, vcc_lo, s8, v2
	s_wait_alu 0xfffd
	s_delay_alu instid0(VALU_DEP_2)
	v_add_co_ci_u32_e32 v3, vcc_lo, s9, v3, vcc_lo
	s_clause 0x2
	global_load_b128 v[44:47], v[2:3], off
	global_load_b128 v[48:51], v[2:3], off offset:32
	global_load_b128 v[52:55], v[2:3], off offset:16
	v_mad_co_u64_u32 v[2:3], null, s2, v6, 0
	s_delay_alu instid0(VALU_DEP_1) | instskip(NEXT) | instid1(VALU_DEP_1)
	v_add3_u32 v3, v3, v7, v0
	v_lshlrev_b64_e32 v[2:3], 2, v[2:3]
	s_wait_loadcnt 0x2
	v_lshrrev_b32_e32 v6, 16, v44
	s_wait_loadcnt 0x1
	v_lshrrev_b32_e32 v0, 16, v51
	v_lshrrev_b32_e32 v7, 16, v45
	;; [unrolled: 1-line block ×7, first 2 shown]
	s_wait_loadcnt 0x0
	v_lshrrev_b32_e32 v32, 16, v55
	v_mul_f16_e32 v56, v42, v6
	v_mul_f16_e32 v57, v43, v0
	;; [unrolled: 1-line block ×4, first 2 shown]
	v_lshrrev_b32_e32 v28, 16, v52
	v_mul_f16_e32 v58, v41, v7
	v_mul_f16_e32 v59, v40, v27
	;; [unrolled: 1-line block ×14, first 2 shown]
	v_fma_f16 v32, v10, v44, -v56
	v_fma_f16 v10, v19, v51, -v57
	v_fmac_f16_e32 v0, v43, v51
	v_fmac_f16_e32 v30, v42, v44
	v_lshrrev_b32_e32 v29, 16, v54
	v_mul_f16_e32 v64, v34, v28
	v_fma_f16 v19, v11, v45, -v58
	v_fma_f16 v11, v18, v50, -v59
	v_fmac_f16_e32 v6, v40, v50
	v_fmac_f16_e32 v27, v41, v45
	v_sub_f16_e32 v41, v32, v10
	v_sub_f16_e32 v44, v30, v0
	v_lshrrev_b32_e32 v31, 16, v53
	v_mul_f16_e32 v28, v8, v28
	s_wait_dscnt 0x0
	v_mul_f16_e32 v67, v35, v29
	v_mul_f16_e32 v29, v14, v29
	v_fma_f16 v18, v12, v46, -v60
	v_fma_f16 v12, v17, v49, -v61
	v_fmac_f16_e32 v7, v38, v49
	v_fmac_f16_e32 v26, v1, v46
	v_fma_f16 v17, v13, v47, -v62
	v_fma_f16 v1, v16, v48, -v63
	v_fmac_f16_e32 v23, v37, v48
	v_fma_f16 v16, v8, v52, -v64
	v_fma_f16 v8, v15, v55, -v65
	v_fmac_f16_e32 v24, v36, v55
	v_add_f16_e32 v38, v30, v0
	v_sub_f16_e32 v42, v19, v11
	v_add_f16_e32 v37, v32, v10
	v_sub_f16_e32 v46, v27, v6
	v_mul_f16_e32 v55, 0xb3a8, v41
	v_mul_f16_e32 v62, 0xb94e, v41
	;; [unrolled: 1-line block ×4, first 2 shown]
	v_fmac_f16_e32 v29, v35, v54
	v_add_f16_e32 v36, v27, v6
	v_sub_f16_e32 v40, v18, v12
	v_add_f16_e32 v35, v19, v11
	v_mul_f16_e32 v56, 0x3770, v42
	v_mul_f16_e32 v59, 0xb3a8, v44
	;; [unrolled: 1-line block ×7, first 2 shown]
	v_fmamk_f16 v102, v38, 0xbbc4, v55
	v_fmamk_f16 v106, v38, 0xb9fd, v62
	v_fma_f16 v112, v37, 0xb5ac, -v70
	v_fmac_f16_e32 v70, 0xb5ac, v37
	v_fma_f16 v13, v9, v53, -v66
	v_add_f16_e32 v15, v26, v7
	v_sub_f16_e32 v45, v26, v7
	v_mul_f16_e32 v57, 0xb94e, v40
	v_mul_f16_e32 v60, 0x3770, v46
	;; [unrolled: 1-line block ×7, first 2 shown]
	v_fmamk_f16 v103, v36, 0x3b15, v56
	v_fma_f16 v104, v37, 0xbbc4, -v59
	v_fmamk_f16 v107, v36, 0x2fb7, v63
	v_fma_f16 v108, v37, 0xb9fd, -v65
	v_fmamk_f16 v110, v38, 0xb5ac, v68
	v_add_f16_e32 v102, v102, v22
	v_fma_f16 v113, v35, 0xb9fd, -v71
	v_fmamk_f16 v114, v38, 0x2fb7, v72
	v_add_f16_e32 v106, v106, v22
	v_fma_f16 v72, v38, 0x2fb7, -v72
	v_fmac_f16_e32 v71, 0xb9fd, v35
	v_add_f16_e32 v70, v70, v21
	v_mul_f16_e32 v31, v9, v31
	v_fmac_f16_e32 v25, v39, v47
	v_fmac_f16_e32 v28, v34, v52
	v_fma_f16 v9, v14, v54, -v67
	v_add_f16_e32 v34, v18, v12
	v_mul_f16_e32 v61, 0xb94e, v45
	v_mul_f16_e32 v67, 0xba95, v45
	;; [unrolled: 1-line block ×5, first 2 shown]
	v_fma_f16 v105, v35, 0x3b15, -v60
	v_fma_f16 v109, v35, 0x2fb7, -v66
	v_fmamk_f16 v111, v36, 0xb9fd, v69
	v_fmamk_f16 v115, v36, 0xbbc4, v73
	v_add_f16_e32 v104, v104, v21
	v_add_f16_e32 v102, v102, v103
	v_fma_f16 v103, v37, 0x2fb7, -v74
	v_add_f16_e32 v108, v108, v21
	v_add_f16_e32 v110, v110, v22
	;; [unrolled: 1-line block ×3, first 2 shown]
	v_fmamk_f16 v107, v38, 0x388b, v76
	v_fmac_f16_e32 v65, 0xb9fd, v37
	v_fma_f16 v68, v38, 0xb5ac, -v68
	v_fmac_f16_e32 v74, 0x2fb7, v37
	v_fma_f16 v73, v36, 0xbbc4, -v73
	v_add_f16_e32 v72, v72, v22
	v_add_f16_e32 v70, v70, v71
	v_fmamk_f16 v71, v15, 0xb9fd, v57
	v_sub_f16_e32 v39, v17, v1
	v_sub_f16_e32 v43, v25, v23
	v_mul_f16_e32 v64, 0xba95, v40
	v_mul_f16_e32 v79, 0xbb7b, v46
	;; [unrolled: 1-line block ×6, first 2 shown]
	v_add_f16_e32 v104, v104, v105
	v_fma_f16 v105, v35, 0xbbc4, -v75
	v_add_f16_e32 v108, v108, v109
	v_fmamk_f16 v109, v36, 0xb5ac, v77
	v_add_f16_e32 v112, v112, v21
	v_add_f16_e32 v110, v110, v111
	v_fma_f16 v111, v37, 0x388b, -v78
	v_add_f16_e32 v114, v114, v22
	v_add_f16_e32 v107, v107, v22
	v_fmac_f16_e32 v66, 0x2fb7, v35
	v_add_f16_e32 v65, v65, v21
	v_fma_f16 v69, v36, 0xb9fd, -v69
	v_add_f16_e32 v68, v68, v22
	v_fmac_f16_e32 v75, 0xbbc4, v35
	v_add_f16_e32 v74, v74, v21
	v_add_f16_e32 v72, v72, v73
	v_fma_f16 v73, v34, 0xb9fd, -v61
	v_add_f16_e32 v71, v102, v71
	v_fma_f16 v102, v34, 0x388b, -v67
	v_fmac_f16_e32 v31, v33, v53
	v_add_f16_e32 v14, v25, v23
	v_add_f16_e32 v33, v17, v1
	v_mul_f16_e32 v58, 0x3a95, v39
	v_mul_f16_e32 v42, 0xba95, v42
	;; [unrolled: 1-line block ×7, first 2 shown]
	v_add_f16_e32 v103, v103, v21
	v_add_f16_e32 v112, v112, v113
	v_fmamk_f16 v113, v38, 0x3b15, v41
	v_add_f16_e32 v114, v114, v115
	v_fma_f16 v115, v35, 0xb5ac, -v79
	v_add_f16_e32 v111, v111, v21
	v_add_f16_e32 v107, v107, v109
	v_fma_f16 v109, v37, 0x3b15, -v44
	v_fma_f16 v55, v38, 0xbbc4, -v55
	v_fmac_f16_e32 v59, 0xbbc4, v37
	v_fma_f16 v62, v38, 0xb9fd, -v62
	v_add_f16_e32 v65, v65, v66
	v_add_f16_e32 v68, v68, v69
	;; [unrolled: 1-line block ×3, first 2 shown]
	v_fmamk_f16 v75, v15, 0x388b, v64
	v_add_f16_e32 v73, v104, v73
	v_fmamk_f16 v104, v15, 0x3b15, v80
	v_add_f16_e32 v102, v108, v102
	v_fmamk_f16 v108, v15, 0xb5ac, v82
	v_fmac_f16_e32 v67, 0x388b, v34
	v_fma_f16 v80, v15, 0x3b15, -v80
	v_mul_f16_e32 v84, 0xb3a8, v40
	v_mul_f16_e32 v40, 0xbbf1, v40
	;; [unrolled: 1-line block ×8, first 2 shown]
	v_add_f16_e32 v103, v103, v105
	v_fmamk_f16 v105, v36, 0x388b, v42
	v_add_f16_e32 v113, v113, v22
	v_add_f16_e32 v111, v111, v115
	v_fma_f16 v115, v35, 0x388b, -v46
	v_add_f16_e32 v109, v109, v21
	v_fma_f16 v56, v36, 0x3b15, -v56
	v_add_f16_e32 v55, v55, v22
	v_fmac_f16_e32 v60, 0x3b15, v35
	v_add_f16_e32 v59, v59, v21
	v_fma_f16 v63, v36, 0x2fb7, -v63
	v_add_f16_e32 v62, v62, v22
	v_add_f16_e32 v75, v106, v75
	v_fma_f16 v106, v34, 0x3b15, -v81
	v_add_f16_e32 v104, v110, v104
	v_fma_f16 v110, v34, 0xb5ac, -v83
	;; [unrolled: 2-line block ×3, first 2 shown]
	v_fmac_f16_e32 v81, 0x3b15, v34
	v_fma_f16 v82, v15, 0xb5ac, -v82
	v_fmac_f16_e32 v83, 0xb5ac, v34
	v_add_f16_e32 v65, v65, v67
	v_fmamk_f16 v67, v14, 0x388b, v58
	v_add_f16_e32 v68, v68, v80
	v_fma_f16 v80, v33, 0x388b, -v86
	v_sub_f16_e32 v50, v16, v8
	v_sub_f16_e32 v51, v28, v24
	v_mul_f16_e32 v92, 0x3770, v43
	v_mul_f16_e32 v93, 0x394e, v39
	v_mul_f16_e32 v94, 0x394e, v43
	v_mul_f16_e32 v39, 0xbb7b, v39
	v_mul_f16_e32 v43, 0xbb7b, v43
	v_add_f16_e32 v105, v113, v105
	v_add_f16_e32 v109, v109, v115
	;; [unrolled: 1-line block ×6, first 2 shown]
	v_fmamk_f16 v112, v15, 0xbbc4, v84
	v_add_f16_e32 v103, v103, v110
	v_fmamk_f16 v110, v15, 0x2fb7, v40
	v_add_f16_e32 v111, v111, v114
	v_fma_f16 v114, v34, 0x2fb7, -v45
	v_fma_f16 v57, v15, 0xb9fd, -v57
	v_fmac_f16_e32 v61, 0xb9fd, v34
	v_fma_f16 v64, v15, 0x388b, -v64
	v_add_f16_e32 v70, v70, v81
	v_fmamk_f16 v81, v14, 0xbbc4, v87
	v_add_f16_e32 v72, v72, v82
	v_fma_f16 v82, v33, 0xbbc4, -v88
	v_add_f16_e32 v74, v74, v83
	v_fmamk_f16 v83, v14, 0x2fb7, v89
	v_add_f16_e32 v67, v71, v67
	;; [unrolled: 4-line block ×3, first 2 shown]
	v_add_f16_e32 v47, v16, v8
	v_sub_f16_e32 v52, v13, v9
	v_sub_f16_e32 v54, v31, v29
	v_mul_f16_e32 v95, 0xbb7b, v50
	v_mul_f16_e32 v96, 0xbb7b, v51
	;; [unrolled: 1-line block ×5, first 2 shown]
	v_add_f16_e32 v107, v107, v112
	v_add_f16_e32 v105, v105, v110
	;; [unrolled: 1-line block ×7, first 2 shown]
	v_fma_f16 v81, v33, 0x3b15, -v92
	v_add_f16_e32 v82, v102, v82
	v_fmamk_f16 v102, v14, 0xb9fd, v93
	v_add_f16_e32 v83, v104, v83
	v_fma_f16 v104, v33, 0xb9fd, -v94
	v_add_f16_e32 v71, v106, v71
	v_fmamk_f16 v106, v14, 0xb5ac, v39
	v_add_f16_e32 v80, v108, v80
	v_fma_f16 v108, v33, 0xb5ac, -v43
	v_fma_f16 v58, v14, 0x388b, -v58
	v_fmac_f16_e32 v86, 0x388b, v33
	v_fma_f16 v87, v14, 0xbbc4, -v87
	v_fmac_f16_e32 v88, 0xbbc4, v33
	v_fma_f16 v89, v14, 0x2fb7, -v89
	v_add_f16_e32 v53, v31, v29
	v_add_f16_e32 v49, v13, v9
	v_mul_f16_e32 v60, 0x3bf1, v52
	v_mul_f16_e32 v63, 0x3bf1, v54
	;; [unrolled: 1-line block ×5, first 2 shown]
	v_add_f16_e32 v81, v103, v81
	v_fmamk_f16 v103, v48, 0xb5ac, v95
	v_add_f16_e32 v102, v107, v102
	v_fma_f16 v107, v47, 0xb5ac, -v96
	v_add_f16_e32 v104, v111, v104
	v_fmamk_f16 v111, v48, 0x3b15, v97
	v_add_f16_e32 v105, v105, v106
	v_fma_f16 v106, v47, 0x3b15, -v98
	v_add_f16_e32 v108, v109, v108
	v_fmamk_f16 v109, v48, 0xbbc4, v99
	v_add_f16_e32 v55, v55, v58
	v_add_f16_e32 v59, v59, v86
	;; [unrolled: 1-line block ×5, first 2 shown]
	v_fma_f16 v95, v48, 0xb5ac, -v95
	v_fmac_f16_e32 v96, 0xb5ac, v47
	v_fma_f16 v97, v48, 0x3b15, -v97
	v_fmac_f16_e32 v98, 0x3b15, v47
	v_fma_f16 v99, v48, 0xbbc4, -v99
	v_mul_f16_e32 v113, 0xba95, v51
	v_add_f16_e32 v67, v67, v103
	v_fmamk_f16 v103, v53, 0x2fb7, v60
	v_add_f16_e32 v73, v73, v107
	v_fma_f16 v107, v49, 0x2fb7, -v63
	v_add_f16_e32 v75, v75, v111
	v_fmamk_f16 v111, v53, 0xb5ac, v66
	v_add_f16_e32 v82, v82, v106
	v_fma_f16 v106, v49, 0xb5ac, -v69
	v_add_f16_e32 v83, v83, v109
	v_fmamk_f16 v109, v53, 0x388b, v112
	v_fma_f16 v60, v53, 0x2fb7, -v60
	v_fmac_f16_e32 v63, 0x2fb7, v49
	v_fma_f16 v66, v53, 0xb5ac, -v66
	v_fmac_f16_e32 v69, 0xb5ac, v49
	v_fma_f16 v112, v53, 0x388b, -v112
	v_fma_f16 v76, v38, 0x388b, -v76
	v_add_f16_e32 v55, v55, v95
	v_add_f16_e32 v59, v59, v96
	;; [unrolled: 1-line block ×5, first 2 shown]
	v_fmac_f16_e32 v92, 0x3b15, v33
	v_mul_f16_e32 v57, 0xb94e, v54
	v_fma_f16 v87, v47, 0x388b, -v113
	v_add_f16_e32 v55, v55, v60
	v_add_f16_e32 v59, v59, v63
	;; [unrolled: 1-line block ×6, first 2 shown]
	v_fma_f16 v68, v36, 0xb5ac, -v77
	v_add_f16_e32 v69, v74, v92
	v_fmac_f16_e32 v113, 0x388b, v47
	v_add_f16_e32 v81, v81, v87
	v_fma_f16 v87, v49, 0xb9fd, -v57
	v_add_f16_e32 v66, v66, v68
	v_fma_f16 v68, v15, 0xbbc4, -v84
	v_add_f16_e32 v69, v69, v113
	v_fmac_f16_e32 v57, 0xb9fd, v49
	v_fmac_f16_e32 v78, 0x388b, v37
	v_add_f16_e32 v30, v30, v22
	v_add_f16_e32 v32, v32, v21
	v_mul_f16_e32 v115, 0x3bf1, v50
	v_add_f16_e32 v66, v66, v68
	v_fma_f16 v68, v14, 0xb9fd, -v93
	v_add_f16_e32 v57, v69, v57
	v_add_f16_e32 v69, v78, v21
	v_fmac_f16_e32 v79, 0xb5ac, v35
	v_add_f16_e32 v27, v30, v27
	v_add_f16_e32 v19, v32, v19
	v_mul_f16_e32 v61, 0x3770, v52
	v_add_f16_e32 v66, v66, v68
	v_fma_f16 v68, v48, 0x2fb7, -v115
	v_add_f16_e32 v69, v69, v79
	v_fmac_f16_e32 v85, 0xbbc4, v34
	v_add_f16_e32 v26, v27, v26
	v_add_f16_e32 v18, v19, v18
	v_mul_f16_e32 v56, 0x3bf1, v51
	v_add_f16_e32 v66, v66, v68
	v_fma_f16 v30, v53, 0x3b15, -v61
	v_add_f16_e32 v32, v69, v85
	v_fmac_f16_e32 v94, 0xb9fd, v33
	v_fma_f16 v27, v38, 0x3b15, -v41
	v_add_f16_e32 v25, v26, v25
	v_add_f16_e32 v17, v18, v17
	v_mul_f16_e32 v64, 0x3770, v54
	v_fma_f16 v89, v47, 0x2fb7, -v56
	v_add_f16_e32 v19, v66, v30
	v_add_f16_e32 v30, v32, v94
	v_fmac_f16_e32 v56, 0x2fb7, v47
	v_add_f16_e32 v18, v27, v22
	v_fma_f16 v22, v36, 0x388b, -v42
	v_add_f16_e32 v25, v25, v28
	v_add_f16_e32 v16, v17, v16
	v_add_f16_e32 v89, v104, v89
	v_fma_f16 v104, v49, 0x3b15, -v64
	v_add_f16_e32 v17, v30, v56
	v_fmac_f16_e32 v64, 0x3b15, v49
	v_add_f16_e32 v18, v18, v22
	v_add_f16_e32 v22, v25, v31
	;; [unrolled: 1-line block ×3, first 2 shown]
	v_fma_f16 v15, v15, 0x2fb7, -v40
	v_add_f16_e32 v16, v17, v64
	v_mul_f16_e32 v101, 0xba95, v50
	v_add_f16_e32 v17, v22, v29
	v_add_f16_e32 v9, v13, v9
	v_mul_f16_e32 v50, 0xb94e, v50
	v_fma_f16 v91, v14, 0x3b15, -v91
	v_fmac_f16_e32 v44, 0x3b15, v37
	v_add_f16_e32 v13, v18, v15
	v_fma_f16 v14, v14, 0xb5ac, -v39
	v_add_f16_e32 v17, v24, v17
	v_add_f16_e32 v8, v8, v9
	v_mul_f16_e32 v114, 0xb94e, v52
	v_mul_f16_e32 v52, 0xb3a8, v52
	v_add_f16_e32 v15, v44, v21
	v_fmac_f16_e32 v46, 0x388b, v35
	v_add_f16_e32 v9, v13, v14
	v_fma_f16 v13, v48, 0xb9fd, -v50
	v_add_f16_e32 v14, v23, v17
	v_add_f16_e32 v1, v1, v8
	;; [unrolled: 1-line block ×3, first 2 shown]
	v_fmac_f16_e32 v45, 0x2fb7, v34
	v_add_f16_e32 v9, v9, v13
	v_add_f16_e32 v7, v7, v14
	;; [unrolled: 1-line block ×3, first 2 shown]
	v_fma_f16 v12, v53, 0xbbc4, -v52
	v_add_f16_e32 v8, v8, v45
	v_fmac_f16_e32 v43, 0xb5ac, v33
	v_add_f16_e32 v13, v6, v7
	v_add_f16_e32 v1, v11, v1
	;; [unrolled: 1-line block ×3, first 2 shown]
	v_add_nc_u32_e32 v9, 7, v20
	v_mad_co_u64_u32 v[6:7], null, s16, v20, 0
	v_add_f16_e32 v11, v8, v43
	v_add_f16_e32 v8, v0, v13
	;; [unrolled: 1-line block ×3, first 2 shown]
	v_mad_co_u64_u32 v[0:1], null, s16, v9, 0
	v_mul_f16_e32 v100, 0x33a8, v51
	s_delay_alu instid0(VALU_DEP_4)
	v_lshlrev_b32_e32 v12, 16, v8
	v_mad_co_u64_u32 v[7:8], null, s17, v20, v[7:8]
	v_and_b32_e32 v10, 0xffff, v10
	v_mul_f16_e32 v51, 0xb94e, v51
	v_mad_co_u64_u32 v[8:9], null, s17, v9, v[1:2]
	v_fmac_f16_e32 v90, 0x2fb7, v33
	v_add_nc_u32_e32 v9, 14, v20
	v_add_nc_u32_e32 v15, 21, v20
	v_mul_f16_e32 v110, 0x3a95, v54
	v_mul_f16_e32 v54, 0xb3a8, v54
	v_fma_f16 v58, v47, 0xbbc4, -v100
	v_mov_b32_e32 v1, v8
	v_or_b32_e32 v12, v12, v10
	v_add_co_u32 v10, vcc_lo, s6, v2
	s_wait_alu 0xfffd
	v_add_co_ci_u32_e32 v13, vcc_lo, s7, v3, vcc_lo
	v_lshlrev_b64_e32 v[2:3], 2, v[4:5]
	v_fmamk_f16 v86, v48, 0x388b, v101
	v_fmamk_f16 v88, v48, 0x2fb7, v115
	v_add_f16_e32 v70, v70, v90
	v_fmamk_f16 v90, v48, 0xb9fd, v50
	v_add_f16_e32 v72, v72, v91
	v_fma_f16 v91, v47, 0xb9fd, -v51
	v_add_co_u32 v17, vcc_lo, v10, v2
	v_mad_co_u64_u32 v[4:5], null, s16, v9, 0
	s_wait_alu 0xfffd
	v_add_co_ci_u32_e32 v18, vcc_lo, v13, v3, vcc_lo
	v_lshlrev_b64_e32 v[2:3], 2, v[6:7]
	v_mad_co_u64_u32 v[6:7], null, s16, v15, 0
	v_add_f16_e32 v58, v71, v58
	v_fma_f16 v71, v49, 0x388b, -v110
	v_add_f16_e32 v80, v80, v86
	v_fmamk_f16 v86, v53, 0xb9fd, v114
	v_add_f16_e32 v88, v102, v88
	v_fmamk_f16 v102, v53, 0x3b15, v61
	v_add_f16_e32 v90, v105, v90
	v_fmamk_f16 v105, v53, 0xbbc4, v52
	v_add_f16_e32 v91, v108, v91
	v_fma_f16 v108, v49, 0xbbc4, -v54
	v_lshlrev_b64_e32 v[0:1], 2, v[0:1]
	v_add_f16_e32 v58, v58, v71
	v_add_f16_e32 v71, v80, v86
	;; [unrolled: 1-line block ×6, first 2 shown]
	v_add_co_u32 v2, vcc_lo, v17, v2
	v_mad_co_u64_u32 v[8:9], null, s17, v9, v[5:6]
	v_mov_b32_e32 v5, v7
	s_wait_alu 0xfffd
	v_add_co_ci_u32_e32 v3, vcc_lo, v18, v3, vcc_lo
	v_add_co_u32 v0, vcc_lo, v17, v0
	s_wait_alu 0xfffd
	v_add_co_ci_u32_e32 v1, vcc_lo, v18, v1, vcc_lo
	v_pack_b32_f16 v7, v88, v87
	v_mad_co_u64_u32 v[9:10], null, s17, v15, v[5:6]
	v_dual_mov_b32 v5, v8 :: v_dual_add_nc_u32 v10, 28, v20
	s_clause 0x1
	global_store_b32 v[2:3], v12, off
	global_store_b32 v[0:1], v7, off
	v_add_nc_u32_e32 v12, 35, v20
	v_fmac_f16_e32 v51, 0xb9fd, v47
	v_lshlrev_b64_e32 v[0:1], 2, v[4:5]
	v_mov_b32_e32 v7, v9
	v_mad_co_u64_u32 v[2:3], null, s16, v10, 0
	v_mad_co_u64_u32 v[4:5], null, s16, v12, 0
	v_add_f16_e32 v11, v11, v51
	v_fmac_f16_e32 v54, 0xbbc4, v49
	v_add_nc_u32_e32 v21, 42, v20
	v_lshlrev_b64_e32 v[6:7], 2, v[6:7]
	v_add_f16_e32 v86, v89, v104
	v_add_co_u32 v0, vcc_lo, v17, v0
	v_add_f16_e32 v15, v11, v54
	v_mad_co_u64_u32 v[10:11], null, s17, v10, v[3:4]
	v_mad_co_u64_u32 v[8:9], null, s16, v21, 0
	v_mad_co_u64_u32 v[11:12], null, s17, v12, v[5:6]
	s_wait_alu 0xfffd
	v_add_co_ci_u32_e32 v1, vcc_lo, v18, v1, vcc_lo
	v_pack_b32_f16 v13, v86, v81
	v_mov_b32_e32 v3, v10
	v_mad_co_u64_u32 v[9:10], null, s17, v21, v[9:10]
	v_add_nc_u32_e32 v10, 49, v20
	v_add_co_u32 v6, vcc_lo, v17, v6
	v_mov_b32_e32 v5, v11
	s_wait_alu 0xfffd
	v_add_co_ci_u32_e32 v7, vcc_lo, v18, v7, vcc_lo
	v_pack_b32_f16 v12, v80, v71
	global_store_b32 v[0:1], v13, off
	v_lshlrev_b64_e32 v[0:1], 2, v[2:3]
	v_lshlrev_b64_e32 v[2:3], 2, v[4:5]
	v_mad_co_u64_u32 v[4:5], null, s16, v10, 0
	global_store_b32 v[6:7], v12, off
	v_lshlrev_b64_e32 v[6:7], 2, v[8:9]
	v_add_co_u32 v0, vcc_lo, v17, v0
	s_wait_alu 0xfffd
	v_add_co_ci_u32_e32 v1, vcc_lo, v18, v1, vcc_lo
	v_add_f16_e32 v67, v67, v103
	v_add_f16_e32 v73, v73, v107
	;; [unrolled: 1-line block ×5, first 2 shown]
	v_add_co_u32 v2, vcc_lo, v17, v2
	s_wait_alu 0xfffd
	v_add_co_ci_u32_e32 v3, vcc_lo, v18, v3, vcc_lo
	v_mad_co_u64_u32 v[8:9], null, s17, v10, v[5:6]
	v_add_co_u32 v6, vcc_lo, v17, v6
	v_pack_b32_f16 v11, v58, v83
	v_pack_b32_f16 v9, v82, v75
	s_wait_alu 0xfffd
	v_add_co_ci_u32_e32 v7, vcc_lo, v18, v7, vcc_lo
	v_pack_b32_f16 v10, v73, v67
	global_store_b32 v[0:1], v11, off
	v_dual_mov_b32 v5, v8 :: v_dual_add_nc_u32 v12, 0x46, v20
	global_store_b32 v[2:3], v9, off
	v_or_b32_e32 v8, 56, v20
	global_store_b32 v[6:7], v10, off
	v_add_nc_u32_e32 v10, 63, v20
	v_lshlrev_b64_e32 v[0:1], 2, v[4:5]
	v_mad_co_u64_u32 v[6:7], null, s16, v12, 0
	v_mad_co_u64_u32 v[2:3], null, s16, v8, 0
	s_delay_alu instid0(VALU_DEP_4)
	v_mad_co_u64_u32 v[4:5], null, s16, v10, 0
	v_add_nc_u32_e32 v21, 0x4d, v20
	v_add_co_u32 v0, vcc_lo, v17, v0
	s_wait_alu 0xfffd
	v_add_co_ci_u32_e32 v1, vcc_lo, v18, v1, vcc_lo
	v_pack_b32_f16 v13, v59, v55
	v_mad_co_u64_u32 v[8:9], null, s17, v8, v[3:4]
	v_mad_co_u64_u32 v[9:10], null, s17, v10, v[5:6]
	v_mov_b32_e32 v5, v7
	v_mad_co_u64_u32 v[10:11], null, s16, v21, 0
	global_store_b32 v[0:1], v13, off
	v_mov_b32_e32 v3, v8
	v_mad_co_u64_u32 v[7:8], null, s17, v12, v[5:6]
	v_dual_mov_b32 v5, v9 :: v_dual_add_nc_u32 v12, 0x54, v20
	s_delay_alu instid0(VALU_DEP_3) | instskip(SKIP_2) | instid1(VALU_DEP_4)
	v_lshlrev_b64_e32 v[0:1], 2, v[2:3]
	v_mov_b32_e32 v2, v11
	v_fmac_f16_e32 v100, 0xbbc4, v47
	v_mad_co_u64_u32 v[8:9], null, s16, v12, 0
	v_lshlrev_b64_e32 v[4:5], 2, v[4:5]
	s_delay_alu instid0(VALU_DEP_4)
	v_mad_co_u64_u32 v[2:3], null, s17, v21, v[2:3]
	v_fma_f16 v65, v48, 0x388b, -v101
	v_add_co_u32 v0, vcc_lo, v17, v0
	v_mov_b32_e32 v3, v9
	s_wait_alu 0xfffd
	v_add_co_ci_u32_e32 v1, vcc_lo, v18, v1, vcc_lo
	v_mov_b32_e32 v11, v2
	v_lshlrev_b64_e32 v[6:7], 2, v[6:7]
	v_mad_co_u64_u32 v[12:13], null, s17, v12, v[3:4]
	v_add_f16_e32 v70, v70, v100
	v_fmac_f16_e32 v110, 0x388b, v49
	v_add_co_u32 v2, vcc_lo, v17, v4
	v_add_f16_e32 v65, v72, v65
	v_fma_f16 v72, v53, 0xb9fd, -v114
	v_mov_b32_e32 v9, v12
	s_wait_alu 0xfffd
	v_add_co_ci_u32_e32 v3, vcc_lo, v18, v5, vcc_lo
	v_lshlrev_b64_e32 v[4:5], 2, v[10:11]
	v_add_f16_e32 v70, v70, v110
	v_add_co_u32 v6, vcc_lo, v17, v6
	v_lshlrev_b64_e32 v[8:9], 2, v[8:9]
	v_add_f16_e32 v65, v65, v72
	s_wait_alu 0xfffd
	v_add_co_ci_u32_e32 v7, vcc_lo, v18, v7, vcc_lo
	v_add_co_u32 v4, vcc_lo, v17, v4
	v_pack_b32_f16 v20, v62, v60
	v_pack_b32_f16 v13, v70, v63
	s_wait_alu 0xfffd
	v_add_co_ci_u32_e32 v5, vcc_lo, v18, v5, vcc_lo
	v_pack_b32_f16 v10, v57, v65
	v_add_co_u32 v8, vcc_lo, v17, v8
	v_pack_b32_f16 v11, v16, v19
	s_wait_alu 0xfffd
	v_add_co_ci_u32_e32 v9, vcc_lo, v18, v9, vcc_lo
	v_pack_b32_f16 v12, v15, v14
	s_clause 0x4
	global_store_b32 v[0:1], v20, off
	global_store_b32 v[2:3], v13, off
	;; [unrolled: 1-line block ×5, first 2 shown]
.LBB0_16:
	s_nop 0
	s_sendmsg sendmsg(MSG_DEALLOC_VGPRS)
	s_endpgm
	.section	.rodata,"a",@progbits
	.p2align	6, 0x0
	.amdhsa_kernel fft_rtc_fwd_len91_factors_7_13_wgs_247_tpt_13_half_op_CI_CI_sbrr_dirReg
		.amdhsa_group_segment_fixed_size 0
		.amdhsa_private_segment_fixed_size 0
		.amdhsa_kernarg_size 104
		.amdhsa_user_sgpr_count 2
		.amdhsa_user_sgpr_dispatch_ptr 0
		.amdhsa_user_sgpr_queue_ptr 0
		.amdhsa_user_sgpr_kernarg_segment_ptr 1
		.amdhsa_user_sgpr_dispatch_id 0
		.amdhsa_user_sgpr_private_segment_size 0
		.amdhsa_wavefront_size32 1
		.amdhsa_uses_dynamic_stack 0
		.amdhsa_enable_private_segment 0
		.amdhsa_system_sgpr_workgroup_id_x 1
		.amdhsa_system_sgpr_workgroup_id_y 0
		.amdhsa_system_sgpr_workgroup_id_z 0
		.amdhsa_system_sgpr_workgroup_info 0
		.amdhsa_system_vgpr_workitem_id 0
		.amdhsa_next_free_vgpr 116
		.amdhsa_next_free_sgpr 43
		.amdhsa_reserve_vcc 1
		.amdhsa_float_round_mode_32 0
		.amdhsa_float_round_mode_16_64 0
		.amdhsa_float_denorm_mode_32 3
		.amdhsa_float_denorm_mode_16_64 3
		.amdhsa_fp16_overflow 0
		.amdhsa_workgroup_processor_mode 1
		.amdhsa_memory_ordered 1
		.amdhsa_forward_progress 0
		.amdhsa_round_robin_scheduling 0
		.amdhsa_exception_fp_ieee_invalid_op 0
		.amdhsa_exception_fp_denorm_src 0
		.amdhsa_exception_fp_ieee_div_zero 0
		.amdhsa_exception_fp_ieee_overflow 0
		.amdhsa_exception_fp_ieee_underflow 0
		.amdhsa_exception_fp_ieee_inexact 0
		.amdhsa_exception_int_div_zero 0
	.end_amdhsa_kernel
	.text
.Lfunc_end0:
	.size	fft_rtc_fwd_len91_factors_7_13_wgs_247_tpt_13_half_op_CI_CI_sbrr_dirReg, .Lfunc_end0-fft_rtc_fwd_len91_factors_7_13_wgs_247_tpt_13_half_op_CI_CI_sbrr_dirReg
                                        ; -- End function
	.section	.AMDGPU.csdata,"",@progbits
; Kernel info:
; codeLenInByte = 7228
; NumSgprs: 45
; NumVgprs: 116
; ScratchSize: 0
; MemoryBound: 0
; FloatMode: 240
; IeeeMode: 1
; LDSByteSize: 0 bytes/workgroup (compile time only)
; SGPRBlocks: 5
; VGPRBlocks: 14
; NumSGPRsForWavesPerEU: 45
; NumVGPRsForWavesPerEU: 116
; Occupancy: 12
; WaveLimiterHint : 1
; COMPUTE_PGM_RSRC2:SCRATCH_EN: 0
; COMPUTE_PGM_RSRC2:USER_SGPR: 2
; COMPUTE_PGM_RSRC2:TRAP_HANDLER: 0
; COMPUTE_PGM_RSRC2:TGID_X_EN: 1
; COMPUTE_PGM_RSRC2:TGID_Y_EN: 0
; COMPUTE_PGM_RSRC2:TGID_Z_EN: 0
; COMPUTE_PGM_RSRC2:TIDIG_COMP_CNT: 0
	.text
	.p2alignl 7, 3214868480
	.fill 96, 4, 3214868480
	.type	__hip_cuid_dff83bef7f614b6f,@object ; @__hip_cuid_dff83bef7f614b6f
	.section	.bss,"aw",@nobits
	.globl	__hip_cuid_dff83bef7f614b6f
__hip_cuid_dff83bef7f614b6f:
	.byte	0                               ; 0x0
	.size	__hip_cuid_dff83bef7f614b6f, 1

	.ident	"AMD clang version 19.0.0git (https://github.com/RadeonOpenCompute/llvm-project roc-6.4.0 25133 c7fe45cf4b819c5991fe208aaa96edf142730f1d)"
	.section	".note.GNU-stack","",@progbits
	.addrsig
	.addrsig_sym __hip_cuid_dff83bef7f614b6f
	.amdgpu_metadata
---
amdhsa.kernels:
  - .args:
      - .actual_access:  read_only
        .address_space:  global
        .offset:         0
        .size:           8
        .value_kind:     global_buffer
      - .offset:         8
        .size:           8
        .value_kind:     by_value
      - .actual_access:  read_only
        .address_space:  global
        .offset:         16
        .size:           8
        .value_kind:     global_buffer
      - .actual_access:  read_only
        .address_space:  global
        .offset:         24
        .size:           8
        .value_kind:     global_buffer
      - .actual_access:  read_only
        .address_space:  global
        .offset:         32
        .size:           8
        .value_kind:     global_buffer
      - .offset:         40
        .size:           8
        .value_kind:     by_value
      - .actual_access:  read_only
        .address_space:  global
        .offset:         48
        .size:           8
        .value_kind:     global_buffer
      - .actual_access:  read_only
        .address_space:  global
        .offset:         56
        .size:           8
        .value_kind:     global_buffer
      - .offset:         64
        .size:           4
        .value_kind:     by_value
      - .actual_access:  read_only
        .address_space:  global
        .offset:         72
        .size:           8
        .value_kind:     global_buffer
      - .actual_access:  read_only
        .address_space:  global
        .offset:         80
        .size:           8
        .value_kind:     global_buffer
      - .actual_access:  read_only
        .address_space:  global
        .offset:         88
        .size:           8
        .value_kind:     global_buffer
      - .actual_access:  write_only
        .address_space:  global
        .offset:         96
        .size:           8
        .value_kind:     global_buffer
    .group_segment_fixed_size: 0
    .kernarg_segment_align: 8
    .kernarg_segment_size: 104
    .language:       OpenCL C
    .language_version:
      - 2
      - 0
    .max_flat_workgroup_size: 247
    .name:           fft_rtc_fwd_len91_factors_7_13_wgs_247_tpt_13_half_op_CI_CI_sbrr_dirReg
    .private_segment_fixed_size: 0
    .sgpr_count:     45
    .sgpr_spill_count: 0
    .symbol:         fft_rtc_fwd_len91_factors_7_13_wgs_247_tpt_13_half_op_CI_CI_sbrr_dirReg.kd
    .uniform_work_group_size: 1
    .uses_dynamic_stack: false
    .vgpr_count:     116
    .vgpr_spill_count: 0
    .wavefront_size: 32
    .workgroup_processor_mode: 1
amdhsa.target:   amdgcn-amd-amdhsa--gfx1201
amdhsa.version:
  - 1
  - 2
...

	.end_amdgpu_metadata
